;; amdgpu-corpus repo=ROCm/rocFFT kind=compiled arch=gfx906 opt=O3
	.text
	.amdgcn_target "amdgcn-amd-amdhsa--gfx906"
	.amdhsa_code_object_version 6
	.protected	fft_rtc_fwd_len256_factors_4_4_4_4_wgs_256_tpt_32_dp_op_CI_CI_sbrc_erc_z_xy_unaligned ; -- Begin function fft_rtc_fwd_len256_factors_4_4_4_4_wgs_256_tpt_32_dp_op_CI_CI_sbrc_erc_z_xy_unaligned
	.globl	fft_rtc_fwd_len256_factors_4_4_4_4_wgs_256_tpt_32_dp_op_CI_CI_sbrc_erc_z_xy_unaligned
	.p2align	8
	.type	fft_rtc_fwd_len256_factors_4_4_4_4_wgs_256_tpt_32_dp_op_CI_CI_sbrc_erc_z_xy_unaligned,@function
fft_rtc_fwd_len256_factors_4_4_4_4_wgs_256_tpt_32_dp_op_CI_CI_sbrc_erc_z_xy_unaligned: ; @fft_rtc_fwd_len256_factors_4_4_4_4_wgs_256_tpt_32_dp_op_CI_CI_sbrc_erc_z_xy_unaligned
; %bb.0:
	s_load_dwordx8 s[8:15], s[4:5], 0x0
	s_waitcnt lgkmcnt(0)
	s_load_dwordx4 s[0:3], s[12:13], 0x8
	s_load_dwordx2 s[24:25], s[4:5], 0x20
	s_load_dwordx4 s[16:19], s[14:15], 0x0
	s_load_dword s7, s[14:15], 0x10
	s_waitcnt lgkmcnt(0)
	s_add_i32 s1, s0, -1
	s_lshr_b32 s1, s1, 3
	s_add_i32 s3, s1, 1
	s_mul_i32 s2, s3, s2
	v_cvt_f32_u32_e32 v2, s2
	v_cvt_f32_u32_e32 v1, s3
	s_sub_i32 s12, 0, s2
	v_rcp_iflag_f32_e32 v2, v2
	v_rcp_iflag_f32_e32 v1, v1
	v_mul_f32_e32 v2, 0x4f7ffffe, v2
	v_cvt_u32_f32_e32 v2, v2
	v_mul_f32_e32 v1, 0x4f7ffffe, v1
	v_cvt_u32_f32_e32 v1, v1
	v_readfirstlane_b32 s19, v2
	s_mul_i32 s12, s12, s19
	s_mul_hi_u32 s12, s19, s12
	s_add_i32 s19, s19, s12
	s_mul_hi_u32 s12, s6, s19
	s_mul_i32 s19, s12, s2
	s_sub_i32 s19, s6, s19
	s_add_i32 s20, s12, 1
	s_sub_i32 s21, s19, s2
	s_cmp_ge_u32 s19, s2
	s_cselect_b32 s12, s20, s12
	s_cselect_b32 s19, s21, s19
	s_add_i32 s20, s12, 1
	s_cmp_ge_u32 s19, s2
	v_readfirstlane_b32 s13, v1
	s_cselect_b32 s26, s20, s12
	s_not_b32 s1, s1
	s_mul_i32 s1, s1, s13
	s_mul_i32 s2, s26, s2
	s_mul_hi_u32 s1, s13, s1
	s_sub_i32 s2, s6, s2
	s_add_i32 s13, s13, s1
	s_mul_hi_u32 s1, s2, s13
	s_mul_i32 s12, s1, s3
	s_sub_i32 s2, s2, s12
	s_add_i32 s19, s1, 1
	s_sub_i32 s12, s2, s3
	s_cmp_ge_u32 s2, s3
	s_cselect_b32 s1, s19, s1
	s_cselect_b32 s2, s12, s2
	s_add_i32 s12, s1, 1
	s_cmp_ge_u32 s2, s3
	s_cselect_b32 s27, s12, s1
	s_mul_hi_u32 s1, s6, s13
	s_mul_i32 s1, s1, s3
	s_sub_i32 s1, s6, s1
	s_sub_i32 s2, s1, s3
	s_cmp_ge_u32 s1, s3
	s_cselect_b32 s1, s2, s1
	s_sub_i32 s2, s1, s3
	s_cmp_ge_u32 s1, s3
	s_cselect_b32 s1, s2, s1
	s_lshl_b32 s1, s1, 3
	s_mul_i32 s2, s27, s7
	s_mul_i32 s3, s1, s18
	s_add_i32 s19, s3, s2
	s_lshl_b64 s[6:7], s[10:11], 3
	s_add_u32 s10, s14, s6
	s_addc_u32 s11, s15, s7
	s_load_dwordx2 s[22:23], s[10:11], 0x0
	s_load_dwordx2 s[20:21], s[4:5], 0x58
	s_load_dwordx4 s[12:15], s[24:25], 0x0
	s_load_dwordx2 s[2:3], s[24:25], 0x10
	s_waitcnt lgkmcnt(0)
	s_mul_i32 s3, s23, s26
	s_mul_hi_u32 s10, s22, s26
	s_add_i32 s10, s10, s3
	s_mul_i32 s3, s22, s26
	s_add_u32 s22, s3, s19
	s_addc_u32 s23, s10, 0
	s_add_u32 s6, s24, s6
	s_addc_u32 s7, s25, s7
	s_load_dwordx2 s[10:11], s[6:7], 0x0
	s_add_i32 s3, s1, 8
	s_cmp_le_u32 s3, s0
	s_cselect_b64 s[6:7], -1, 0
	s_mov_b64 s[24:25], -1
	s_and_b64 vcc, exec, s[6:7]
	s_cbranch_vccz .LBB0_2
; %bb.1:
	v_mad_u64_u32 v[1:2], s[24:25], s16, v0, 0
	s_lshl_b64 s[24:25], s[22:23], 4
	s_add_u32 s3, s20, s24
	v_mad_u64_u32 v[2:3], s[28:29], s17, v0, v[2:3]
	s_addc_u32 s15, s21, s25
	v_mov_b32_e32 v3, s15
	v_lshlrev_b64 v[1:2], 4, v[1:2]
	s_mov_b32 s19, 0
	v_add_co_u32_e32 v9, vcc, s3, v1
	v_addc_co_u32_e32 v10, vcc, v3, v2, vcc
	s_lshl_b64 s[24:25], s[18:19], 4
	v_mov_b32_e32 v1, s25
	v_add_co_u32_e32 v11, vcc, s24, v9
	s_mov_b32 s25, s19
	s_add_i32 s24, s18, s18
	v_addc_co_u32_e32 v12, vcc, v10, v1, vcc
	s_lshl_b64 s[40:41], s[24:25], 4
	global_load_dwordx4 v[1:4], v[9:10], off
	global_load_dwordx4 v[5:8], v[11:12], off
	s_mov_b32 s29, s19
	s_add_i32 s28, s24, s18
	v_mov_b32_e32 v11, s41
	v_add_co_u32_e32 v33, vcc, s40, v9
	s_lshl_b64 s[24:25], s[28:29], 4
	v_addc_co_u32_e32 v34, vcc, v10, v11, vcc
	s_mov_b32 s31, s19
	s_add_i32 s30, s28, s18
	v_mov_b32_e32 v12, s25
	v_add_co_u32_e32 v35, vcc, s24, v9
	s_lshl_b64 s[28:29], s[30:31], 4
	v_addc_co_u32_e32 v36, vcc, v10, v12, vcc
	;; [unrolled: 6-line block ×5, first 2 shown]
	v_mov_b32_e32 v11, s37
	v_add_co_u32_e32 v43, vcc, s36, v9
	v_addc_co_u32_e32 v44, vcc, v10, v11, vcc
	global_load_dwordx4 v[9:12], v[33:34], off
	global_load_dwordx4 v[13:16], v[35:36], off
	;; [unrolled: 1-line block ×6, first 2 shown]
	v_lshl_add_u32 v33, v0, 4, 0
	s_mov_b64 s[24:25], 0
	s_waitcnt vmcnt(7)
	ds_write_b128 v33, v[1:4]
	s_waitcnt vmcnt(6)
	ds_write_b128 v33, v[5:8] offset:4112
	s_waitcnt vmcnt(5)
	ds_write_b128 v33, v[9:12] offset:8224
	s_waitcnt vmcnt(4)
	ds_write_b128 v33, v[13:16] offset:12336
	s_waitcnt vmcnt(3)
	ds_write_b128 v33, v[17:20] offset:16448
	s_waitcnt vmcnt(2)
	ds_write_b128 v33, v[21:24] offset:20560
	s_waitcnt vmcnt(1)
	ds_write_b128 v33, v[25:28] offset:24672
	s_waitcnt vmcnt(0)
	ds_write_b128 v33, v[29:32] offset:28784
.LBB0_2:
	s_load_dwordx2 s[4:5], s[4:5], 0x60
	s_andn2_b64 vcc, exec, s[24:25]
	s_cbranch_vccnz .LBB0_7
; %bb.3:
	s_cmp_lt_u32 s1, s0
	s_cselect_b64 s[28:29], -1, 0
	s_and_saveexec_b64 s[24:25], s[28:29]
	s_cbranch_execz .LBB0_6
; %bb.4:
	v_mad_u64_u32 v[1:2], s[28:29], s16, v0, 0
	v_mov_b32_e32 v3, s1
	v_lshl_add_u32 v6, v0, 4, 0
	v_mad_u64_u32 v[4:5], s[16:17], s17, v0, v[2:3]
	s_lshl_b64 s[16:17], s[22:23], 4
	s_add_u32 s3, s20, s16
	v_mov_b32_e32 v2, v4
	v_lshlrev_b64 v[1:2], 4, v[1:2]
	s_addc_u32 s15, s21, s17
	v_mov_b32_e32 v5, s15
	v_add_co_u32_e32 v4, vcc, s3, v1
	v_addc_co_u32_e32 v5, vcc, v5, v2, vcc
	v_mov_b32_e32 v2, 0
	s_mov_b64 s[16:17], 0
	v_mov_b32_e32 v1, v2
.LBB0_5:                                ; =>This Inner Loop Header: Depth=1
	v_lshlrev_b64 v[7:8], 4, v[1:2]
	v_add_u32_e32 v3, 1, v3
	v_add_co_u32_e32 v7, vcc, v4, v7
	v_addc_co_u32_e32 v8, vcc, v5, v8, vcc
	global_load_dwordx4 v[7:10], v[7:8], off
	v_cmp_le_u32_e32 vcc, s0, v3
	v_add_u32_e32 v1, s18, v1
	s_or_b64 s[16:17], vcc, s[16:17]
	s_waitcnt vmcnt(0)
	ds_write_b128 v6, v[7:10]
	v_add_u32_e32 v6, 0x1010, v6
	s_andn2_b64 exec, exec, s[16:17]
	s_cbranch_execnz .LBB0_5
.LBB0_6:
	s_or_b64 exec, exec, s[24:25]
.LBB0_7:
	v_lshrrev_b32_e32 v1, 5, v0
	v_mul_u32_u24_e32 v1, 0x101, v1
	v_and_b32_e32 v3, 31, v0
	v_lshlrev_b32_e32 v2, 4, v1
	v_lshlrev_b32_e32 v9, 4, v3
	v_add3_u32 v1, 0, v9, v2
	s_waitcnt lgkmcnt(0)
	s_barrier
	ds_read_b128 v[5:8], v1 offset:3072
	v_add_u32_e32 v4, 0, v2
	v_add_u32_e32 v2, v4, v9
	ds_read_b128 v[9:12], v1 offset:1024
	ds_read_b128 v[13:16], v1 offset:2048
	;; [unrolled: 1-line block ×4, first 2 shown]
	ds_read_b128 v[25:28], v2
	v_mad_u32_u24 v45, v3, 48, v1
	s_waitcnt lgkmcnt(4)
	v_add_f64 v[33:34], v[9:10], -v[5:6]
	v_add_f64 v[35:36], v[11:12], -v[7:8]
	ds_read_b128 v[5:8], v1 offset:512
	ds_read_b128 v[29:32], v1 offset:2560
	s_waitcnt lgkmcnt(2)
	v_add_f64 v[39:40], v[27:28], -v[15:16]
	v_add_f64 v[37:38], v[25:26], -v[13:14]
	v_or_b32_e32 v49, 32, v3
	s_waitcnt lgkmcnt(0)
	v_add_f64 v[41:42], v[5:6], -v[29:30]
	v_add_f64 v[43:44], v[7:8], -v[31:32]
	;; [unrolled: 1-line block ×4, first 2 shown]
	v_add_f64 v[15:16], v[39:40], v[33:34]
	v_fma_f64 v[9:10], v[9:10], 2.0, -v[33:34]
	v_fma_f64 v[11:12], v[11:12], 2.0, -v[35:36]
	;; [unrolled: 1-line block ×8, first 2 shown]
	v_add_f64 v[13:14], v[37:38], -v[35:36]
	v_add_f64 v[21:22], v[41:42], -v[21:22]
	v_add_f64 v[23:24], v[43:44], v[29:30]
	v_add_f64 v[9:10], v[25:26], -v[9:10]
	v_fma_f64 v[7:8], v[39:40], 2.0, -v[15:16]
	v_add_f64 v[17:18], v[31:32], -v[17:18]
	v_add_f64 v[19:20], v[33:34], -v[19:20]
	v_add_f64 v[11:12], v[27:28], -v[11:12]
	v_fma_f64 v[5:6], v[37:38], 2.0, -v[13:14]
	s_barrier
	v_fma_f64 v[35:36], v[43:44], 2.0, -v[23:24]
	v_fma_f64 v[25:26], v[25:26], 2.0, -v[9:10]
	;; [unrolled: 1-line block ×6, first 2 shown]
	ds_write_b128 v45, v[5:8] offset:16
	ds_write_b128 v45, v[13:16] offset:48
	;; [unrolled: 1-line block ×3, first 2 shown]
	ds_write_b128 v45, v[25:28]
	v_lshl_add_u32 v5, v49, 6, v4
	v_and_b32_e32 v50, 3, v0
	ds_write_b128 v5, v[29:32]
	ds_write_b128 v5, v[33:36] offset:16
	ds_write_b128 v5, v[17:20] offset:32
	;; [unrolled: 1-line block ×3, first 2 shown]
	v_mul_u32_u24_e32 v5, 3, v50
	v_lshlrev_b32_e32 v17, 4, v5
	s_waitcnt lgkmcnt(0)
	s_barrier
	global_load_dwordx4 v[5:8], v17, s[8:9]
	global_load_dwordx4 v[9:12], v17, s[8:9] offset:16
	global_load_dwordx4 v[13:16], v17, s[8:9] offset:32
	ds_read_b128 v[17:20], v1 offset:1024
	ds_read_b128 v[21:24], v2
	ds_read_b128 v[25:28], v1 offset:1536
	ds_read_b128 v[29:32], v1 offset:2048
	s_movk_i32 s3, 0xffd0
	v_and_b32_e32 v51, 15, v0
	v_lshlrev_b32_e32 v52, 2, v3
	s_movk_i32 s15, 0xf0
	s_mul_i32 s27, s27, s14
	s_mul_i32 s11, s11, s26
	s_mul_hi_u32 s14, s10, s26
	s_mul_i32 s10, s10, s26
	s_waitcnt vmcnt(2) lgkmcnt(3)
	v_mul_f64 v[33:34], v[19:20], v[7:8]
	v_mul_f64 v[35:36], v[17:18], v[7:8]
	s_waitcnt lgkmcnt(1)
	v_mul_f64 v[37:38], v[27:28], v[7:8]
	v_mul_f64 v[7:8], v[25:26], v[7:8]
	s_waitcnt vmcnt(1) lgkmcnt(0)
	v_mul_f64 v[39:40], v[31:32], v[11:12]
	v_mul_f64 v[41:42], v[29:30], v[11:12]
	v_fma_f64 v[33:34], v[17:18], v[5:6], -v[33:34]
	v_fma_f64 v[35:36], v[19:20], v[5:6], v[35:36]
	v_fma_f64 v[25:26], v[25:26], v[5:6], -v[37:38]
	v_fma_f64 v[27:28], v[27:28], v[5:6], v[7:8]
	ds_read_b128 v[5:8], v1 offset:2560
	ds_read_b128 v[17:20], v1 offset:3072
	v_fma_f64 v[29:30], v[29:30], v[9:10], -v[39:40]
	v_fma_f64 v[31:32], v[31:32], v[9:10], v[41:42]
	s_waitcnt lgkmcnt(1)
	v_mul_f64 v[37:38], v[7:8], v[11:12]
	v_mul_f64 v[11:12], v[5:6], v[11:12]
	s_waitcnt vmcnt(0) lgkmcnt(0)
	v_mul_f64 v[39:40], v[19:20], v[15:16]
	v_mul_f64 v[41:42], v[17:18], v[15:16]
	v_add_f64 v[29:30], v[21:22], -v[29:30]
	v_add_f64 v[31:32], v[23:24], -v[31:32]
	v_fma_f64 v[37:38], v[5:6], v[9:10], -v[37:38]
	v_fma_f64 v[10:11], v[7:8], v[9:10], v[11:12]
	ds_read_b128 v[6:9], v1 offset:3584
	v_mad_i32_i24 v5, v3, s3, v45
	v_fma_f64 v[39:40], v[17:18], v[13:14], -v[39:40]
	v_fma_f64 v[41:42], v[19:20], v[13:14], v[41:42]
	ds_read_b128 v[17:20], v5 offset:512
	s_waitcnt lgkmcnt(1)
	v_mul_f64 v[43:44], v[8:9], v[15:16]
	s_movk_i32 s3, 0x70
	s_waitcnt lgkmcnt(0)
	s_barrier
	v_add_f64 v[37:38], v[17:18], -v[37:38]
	v_add_f64 v[45:46], v[19:20], -v[10:11]
	;; [unrolled: 1-line block ×3, first 2 shown]
	v_fma_f64 v[41:42], v[23:24], 2.0, -v[31:32]
	v_fma_f64 v[43:44], v[6:7], v[13:14], -v[43:44]
	v_mul_f64 v[6:7], v[6:7], v[15:16]
	v_mul_u32_u24_e32 v3, 3, v3
	v_fma_f64 v[47:48], v[19:20], 2.0, -v[45:46]
	v_fma_f64 v[6:7], v[8:9], v[13:14], v[6:7]
	v_add_f64 v[8:9], v[33:34], -v[39:40]
	v_add_f64 v[12:13], v[25:26], -v[43:44]
	v_fma_f64 v[39:40], v[21:22], 2.0, -v[29:30]
	v_fma_f64 v[43:44], v[17:18], 2.0, -v[37:38]
	;; [unrolled: 1-line block ×3, first 2 shown]
	v_add_f64 v[14:15], v[27:28], -v[6:7]
	v_fma_f64 v[16:17], v[33:34], 2.0, -v[8:9]
	v_fma_f64 v[20:21], v[25:26], 2.0, -v[12:13]
	v_add_f64 v[6:7], v[29:30], -v[10:11]
	v_add_f64 v[8:9], v[31:32], v[8:9]
	v_add_f64 v[12:13], v[45:46], v[12:13]
	v_fma_f64 v[22:23], v[27:28], 2.0, -v[14:15]
	v_add_f64 v[10:11], v[37:38], -v[14:15]
	v_add_f64 v[14:15], v[39:40], -v[16:17]
	v_add_f64 v[16:17], v[41:42], -v[18:19]
	v_add_f64 v[18:19], v[43:44], -v[20:21]
	v_fma_f64 v[24:25], v[31:32], 2.0, -v[8:9]
	v_add_f64 v[20:21], v[47:48], -v[22:23]
	v_fma_f64 v[22:23], v[29:30], 2.0, -v[6:7]
	v_fma_f64 v[26:27], v[37:38], 2.0, -v[10:11]
	;; [unrolled: 1-line block ×6, first 2 shown]
	v_mul_u32_u24_e32 v38, 3, v51
	v_and_or_b32 v39, v52, s3, v50
	v_lshlrev_b32_e32 v44, 2, v49
	v_fma_f64 v[36:37], v[47:48], 2.0, -v[20:21]
	v_lshlrev_b32_e32 v40, 4, v38
	v_and_or_b32 v38, v44, s15, v50
	v_lshl_add_u32 v39, v39, 4, v4
	v_lshl_add_u32 v38, v38, 4, v4
	ds_write_b128 v39, v[6:9] offset:192
	ds_write_b128 v38, v[10:13] offset:192
	;; [unrolled: 1-line block ×6, first 2 shown]
	ds_write_b128 v39, v[30:33]
	ds_write_b128 v38, v[34:37]
	s_waitcnt lgkmcnt(0)
	s_barrier
	global_load_dwordx4 v[6:9], v40, s[8:9] offset:192
	global_load_dwordx4 v[10:13], v40, s[8:9] offset:208
	ds_read_b128 v[14:17], v1 offset:1024
	ds_read_b128 v[18:21], v1 offset:1536
	ds_read_b128 v[22:25], v2
	ds_read_b128 v[26:29], v1 offset:2048
	s_movk_i32 s3, 0xc0
	v_lshlrev_b32_e32 v46, 4, v3
	v_and_or_b32 v3, v44, s3, v51
	v_lshl_add_u32 v48, v3, 4, v4
	s_mul_i32 s3, s13, s1
	s_waitcnt vmcnt(1) lgkmcnt(3)
	v_mul_f64 v[30:31], v[16:17], v[8:9]
	v_mul_f64 v[32:33], v[14:15], v[8:9]
	s_waitcnt lgkmcnt(2)
	v_mul_f64 v[34:35], v[20:21], v[8:9]
	v_mul_f64 v[8:9], v[18:19], v[8:9]
	s_waitcnt vmcnt(0) lgkmcnt(0)
	v_mul_f64 v[36:37], v[28:29], v[12:13]
	v_mul_f64 v[38:39], v[26:27], v[12:13]
	v_fma_f64 v[30:31], v[14:15], v[6:7], -v[30:31]
	v_fma_f64 v[32:33], v[16:17], v[6:7], v[32:33]
	v_fma_f64 v[18:19], v[18:19], v[6:7], -v[34:35]
	v_fma_f64 v[20:21], v[20:21], v[6:7], v[8:9]
	ds_read_b128 v[6:9], v1 offset:2560
	ds_read_b128 v[14:17], v1 offset:3072
	v_fma_f64 v[26:27], v[26:27], v[10:11], -v[36:37]
	v_fma_f64 v[28:29], v[28:29], v[10:11], v[38:39]
	s_waitcnt lgkmcnt(1)
	v_mul_f64 v[34:35], v[8:9], v[12:13]
	v_mul_f64 v[12:13], v[6:7], v[12:13]
	v_fma_f64 v[34:35], v[6:7], v[10:11], -v[34:35]
	v_fma_f64 v[36:37], v[8:9], v[10:11], v[12:13]
	global_load_dwordx4 v[6:9], v40, s[8:9] offset:224
	s_waitcnt vmcnt(0) lgkmcnt(0)
	v_mul_f64 v[10:11], v[16:17], v[8:9]
	v_mul_f64 v[12:13], v[14:15], v[8:9]
	v_fma_f64 v[38:39], v[14:15], v[6:7], -v[10:11]
	v_fma_f64 v[40:41], v[16:17], v[6:7], v[12:13]
	ds_read_b128 v[10:13], v1 offset:3584
	ds_read_b128 v[14:17], v5 offset:512
	s_waitcnt lgkmcnt(0)
	s_barrier
	v_mul_f64 v[42:43], v[12:13], v[8:9]
	v_mul_f64 v[8:9], v[10:11], v[8:9]
	v_fma_f64 v[42:43], v[10:11], v[6:7], -v[42:43]
	v_fma_f64 v[6:7], v[12:13], v[6:7], v[8:9]
	v_and_or_b32 v8, v52, 64, v51
	v_lshl_add_u32 v47, v8, 4, v4
	v_add_f64 v[3:4], v[22:23], -v[26:27]
	v_add_f64 v[26:27], v[24:25], -v[28:29]
	;; [unrolled: 1-line block ×8, first 2 shown]
	v_fma_f64 v[38:39], v[22:23], 2.0, -v[3:4]
	v_fma_f64 v[40:41], v[24:25], 2.0, -v[26:27]
	;; [unrolled: 1-line block ×8, first 2 shown]
	v_add_f64 v[6:7], v[3:4], -v[10:11]
	v_add_f64 v[8:9], v[26:27], v[8:9]
	v_add_f64 v[10:11], v[28:29], -v[36:37]
	v_add_f64 v[12:13], v[34:35], v[12:13]
	v_add_f64 v[14:15], v[38:39], -v[14:15]
	v_add_f64 v[16:17], v[40:41], -v[16:17]
	;; [unrolled: 1-line block ×4, first 2 shown]
	v_fma_f64 v[22:23], v[3:4], 2.0, -v[6:7]
	v_fma_f64 v[24:25], v[26:27], 2.0, -v[8:9]
	;; [unrolled: 1-line block ×8, first 2 shown]
	ds_write_b128 v47, v[6:9] offset:768
	ds_write_b128 v48, v[10:13] offset:768
	;; [unrolled: 1-line block ×6, first 2 shown]
	ds_write_b128 v47, v[30:33]
	ds_write_b128 v48, v[34:37]
	s_waitcnt lgkmcnt(0)
	s_barrier
	global_load_dwordx4 v[6:9], v46, s[8:9] offset:960
	global_load_dwordx4 v[10:13], v46, s[8:9] offset:976
	;; [unrolled: 1-line block ×3, first 2 shown]
	ds_read_b128 v[18:21], v1 offset:1024
	ds_read_b128 v[22:25], v1 offset:2048
	ds_read_b128 v[26:29], v2
	global_load_dwordx4 v[30:33], v46, s[8:9] offset:2496
	ds_read_b128 v[34:37], v1 offset:1536
	s_waitcnt vmcnt(3) lgkmcnt(3)
	v_mul_f64 v[2:3], v[20:21], v[8:9]
	v_mul_f64 v[8:9], v[18:19], v[8:9]
	s_waitcnt vmcnt(2) lgkmcnt(2)
	v_mul_f64 v[38:39], v[24:25], v[12:13]
	v_mul_f64 v[12:13], v[22:23], v[12:13]
	v_fma_f64 v[2:3], v[18:19], v[6:7], -v[2:3]
	v_fma_f64 v[40:41], v[20:21], v[6:7], v[8:9]
	ds_read_b128 v[6:9], v1 offset:3072
	ds_read_b128 v[18:21], v1 offset:2560
	v_fma_f64 v[38:39], v[22:23], v[10:11], -v[38:39]
	v_fma_f64 v[42:43], v[24:25], v[10:11], v[12:13]
	global_load_dwordx4 v[10:13], v46, s[8:9] offset:2512
	s_waitcnt vmcnt(2) lgkmcnt(1)
	v_mul_f64 v[22:23], v[8:9], v[16:17]
	v_mul_f64 v[16:17], v[6:7], v[16:17]
	v_fma_f64 v[6:7], v[6:7], v[14:15], -v[22:23]
	v_fma_f64 v[44:45], v[8:9], v[14:15], v[16:17]
	global_load_dwordx4 v[14:17], v46, s[8:9] offset:2528
	s_waitcnt vmcnt(2)
	v_mul_f64 v[8:9], v[36:37], v[32:33]
	v_mul_f64 v[22:23], v[34:35], v[32:33]
	s_mul_hi_u32 s8, s12, s1
	s_mul_i32 s9, s12, s1
	s_add_i32 s8, s8, s3
	v_add_f64 v[6:7], v[2:3], -v[6:7]
	s_add_u32 s3, s9, s27
	s_addc_u32 s9, s8, 0
	v_fma_f64 v[32:33], v[34:35], v[30:31], -v[8:9]
	v_fma_f64 v[30:31], v[36:37], v[30:31], v[22:23]
	ds_read_b128 v[22:25], v1 offset:3584
	v_add_f64 v[36:37], v[28:29], -v[42:43]
	s_add_i32 s14, s14, s11
	v_fma_f64 v[2:3], v[2:3], 2.0, -v[6:7]
	s_add_u32 s8, s3, s10
	v_lshrrev_b32_e32 v9, 3, v0
	s_addc_u32 s9, s9, s14
	s_andn2_b64 vcc, exec, s[6:7]
	v_fma_f64 v[48:49], v[28:29], 2.0, -v[36:37]
	s_waitcnt vmcnt(1) lgkmcnt(1)
	v_mul_f64 v[34:35], v[20:21], v[12:13]
	v_mul_f64 v[12:13], v[18:19], v[12:13]
	v_fma_f64 v[18:19], v[18:19], v[10:11], -v[34:35]
	v_fma_f64 v[20:21], v[20:21], v[10:11], v[12:13]
	ds_read_b128 v[10:13], v5 offset:512
	s_waitcnt vmcnt(0) lgkmcnt(1)
	v_mul_f64 v[34:35], v[24:25], v[16:17]
	v_mul_f64 v[16:17], v[22:23], v[16:17]
	s_waitcnt lgkmcnt(0)
	s_barrier
	v_add_f64 v[42:43], v[12:13], -v[20:21]
	v_fma_f64 v[22:23], v[22:23], v[14:15], -v[34:35]
	v_fma_f64 v[14:15], v[24:25], v[14:15], v[16:17]
	v_add_f64 v[34:35], v[26:27], -v[38:39]
	v_add_f64 v[16:17], v[40:41], -v[44:45]
	;; [unrolled: 1-line block ×3, first 2 shown]
	v_fma_f64 v[50:51], v[12:13], 2.0, -v[42:43]
	v_add_f64 v[12:13], v[36:37], v[6:7]
	v_add_f64 v[44:45], v[32:33], -v[22:23]
	v_add_f64 v[14:15], v[30:31], -v[14:15]
	v_fma_f64 v[46:47], v[26:27], 2.0, -v[34:35]
	v_fma_f64 v[20:21], v[40:41], 2.0, -v[16:17]
	;; [unrolled: 1-line block ×3, first 2 shown]
	v_add_f64 v[10:11], v[34:35], -v[16:17]
	v_fma_f64 v[28:29], v[36:37], 2.0, -v[12:13]
	v_fma_f64 v[22:23], v[32:33], 2.0, -v[44:45]
	;; [unrolled: 1-line block ×3, first 2 shown]
	v_add_f64 v[18:19], v[46:47], -v[2:3]
	v_add_f64 v[20:21], v[48:49], -v[20:21]
	v_add_f64 v[14:15], v[38:39], -v[14:15]
	v_add_f64 v[16:17], v[42:43], v[44:45]
	v_fma_f64 v[26:27], v[34:35], 2.0, -v[10:11]
	v_add_f64 v[22:23], v[40:41], -v[22:23]
	v_add_f64 v[24:25], v[50:51], -v[24:25]
	v_fma_f64 v[34:35], v[46:47], 2.0, -v[18:19]
	v_fma_f64 v[36:37], v[48:49], 2.0, -v[20:21]
	;; [unrolled: 1-line block ×6, first 2 shown]
	ds_write_b128 v1, v[10:13] offset:3072
	ds_write_b128 v1, v[26:29] offset:1024
	;; [unrolled: 1-line block ×3, first 2 shown]
	ds_write_b128 v1, v[34:37]
	ds_write_b128 v5, v[38:41] offset:512
	ds_write_b128 v1, v[30:33] offset:1536
	;; [unrolled: 1-line block ×4, first 2 shown]
	v_and_b32_e32 v10, 7, v0
	s_waitcnt lgkmcnt(0)
	s_barrier
	s_cbranch_vccnz .LBB0_11
; %bb.8:
	v_mad_u64_u32 v[2:3], s[6:7], s12, v10, 0
	v_mul_lo_u32 v7, v9, s2
	s_movk_i32 s3, 0x1010
	v_mov_b32_e32 v1, v3
	v_mad_u64_u32 v[3:4], s[6:7], s13, v10, v[1:2]
	s_lshl_b64 s[6:7], s[8:9], 4
	v_mad_u32_u24 v1, v10, s3, 0
	s_add_u32 s3, s4, s6
	v_lshlrev_b64 v[2:3], 4, v[2:3]
	v_lshl_add_u32 v4, v9, 4, v1
	s_addc_u32 s6, s5, s7
	v_mov_b32_e32 v8, 0
	ds_read_b128 v[11:14], v4
	ds_read_b128 v[15:18], v4 offset:512
	v_mov_b32_e32 v6, s6
	v_add_co_u32_e32 v5, vcc, s3, v2
	v_addc_co_u32_e32 v6, vcc, v6, v3, vcc
	v_lshlrev_b64 v[2:3], 4, v[7:8]
	s_lshl_b32 s3, s2, 5
	v_add_co_u32_e32 v2, vcc, v5, v2
	v_addc_co_u32_e32 v3, vcc, v6, v3, vcc
	v_add_u32_e32 v7, s3, v7
	s_waitcnt lgkmcnt(1)
	global_store_dwordx4 v[2:3], v[11:14], off
	v_lshlrev_b64 v[2:3], 4, v[7:8]
	v_add_u32_e32 v7, s3, v7
	v_add_co_u32_e32 v2, vcc, v5, v2
	v_addc_co_u32_e32 v3, vcc, v6, v3, vcc
	ds_read_b128 v[11:14], v4 offset:1024
	s_waitcnt lgkmcnt(1)
	global_store_dwordx4 v[2:3], v[15:18], off
	ds_read_b128 v[15:18], v4 offset:1536
	v_lshlrev_b64 v[2:3], 4, v[7:8]
	v_add_u32_e32 v7, s3, v7
	v_add_co_u32_e32 v2, vcc, v5, v2
	v_addc_co_u32_e32 v3, vcc, v6, v3, vcc
	s_waitcnt lgkmcnt(1)
	global_store_dwordx4 v[2:3], v[11:14], off
	v_lshlrev_b64 v[2:3], 4, v[7:8]
	v_add_u32_e32 v7, s3, v7
	v_add_co_u32_e32 v2, vcc, v5, v2
	v_addc_co_u32_e32 v3, vcc, v6, v3, vcc
	ds_read_b128 v[11:14], v4 offset:2048
	s_waitcnt lgkmcnt(1)
	global_store_dwordx4 v[2:3], v[15:18], off
	ds_read_b128 v[15:18], v4 offset:2560
	v_lshlrev_b64 v[2:3], 4, v[7:8]
	v_add_u32_e32 v7, s3, v7
	v_add_co_u32_e32 v2, vcc, v5, v2
	v_addc_co_u32_e32 v3, vcc, v6, v3, vcc
	;; [unrolled: 14-line block ×3, first 2 shown]
	s_waitcnt lgkmcnt(1)
	global_store_dwordx4 v[2:3], v[11:14], off
	v_lshlrev_b64 v[2:3], 4, v[7:8]
	s_mov_b32 s11, 0
	v_add_co_u32_e32 v2, vcc, v5, v2
	v_addc_co_u32_e32 v3, vcc, v6, v3, vcc
	v_cmp_gt_u32_e32 vcc, 8, v0
	s_mov_b64 s[14:15], 0
	s_mov_b64 s[6:7], 0
	s_waitcnt lgkmcnt(0)
	global_store_dwordx4 v[2:3], v[15:18], off
                                        ; implicit-def: $vgpr3_vgpr4
                                        ; implicit-def: $vgpr7_vgpr8
	s_and_saveexec_b64 s[16:17], vcc
	s_cbranch_execz .LBB0_10
; %bb.9:
	ds_read_b128 v[1:4], v1 offset:4096
	s_lshl_b32 s10, s2, 8
	s_lshl_b64 s[10:11], s[10:11], 4
	v_mov_b32_e32 v8, s11
	v_add_co_u32_e32 v7, vcc, s10, v5
	s_mov_b64 s[6:7], exec
	v_addc_co_u32_e32 v8, vcc, v6, v8, vcc
	s_waitcnt lgkmcnt(0)
	global_store_dwordx2 v[7:8], v[1:2], off
.LBB0_10:
	s_or_b64 exec, exec, s[16:17]
	s_and_b64 vcc, exec, s[14:15]
	s_cbranch_vccnz .LBB0_12
	s_branch .LBB0_17
.LBB0_11:
	s_mov_b64 s[6:7], 0
                                        ; implicit-def: $vgpr3_vgpr4
                                        ; implicit-def: $vgpr7_vgpr8
	s_cbranch_execz .LBB0_17
.LBB0_12:
	v_or_b32_e32 v1, s1, v10
	v_cmp_gt_u32_e32 vcc, s0, v1
                                        ; implicit-def: $vgpr3_vgpr4
                                        ; implicit-def: $vgpr7_vgpr8
	s_and_saveexec_b64 s[10:11], vcc
	s_cbranch_execz .LBB0_16
; %bb.13:
	v_mad_u64_u32 v[2:3], s[14:15], s12, v10, 0
	v_mul_lo_u32 v5, v9, s2
	s_movk_i32 s1, 0x1010
	v_mov_b32_e32 v1, v3
	v_mad_u64_u32 v[3:4], s[12:13], s13, v10, v[1:2]
	s_lshl_b64 s[8:9], s[8:9], 4
	v_mad_u32_u24 v1, v10, s1, 0
	s_add_u32 s1, s4, s8
	v_lshlrev_b64 v[2:3], 4, v[2:3]
	v_lshl_add_u32 v4, v9, 4, v1
	s_addc_u32 s3, s5, s9
	v_mov_b32_e32 v6, 0
	ds_read_b128 v[11:14], v4
	ds_read_b128 v[15:18], v4 offset:512
	v_mov_b32_e32 v7, s3
	v_add_co_u32_e32 v9, vcc, s1, v2
	v_addc_co_u32_e32 v10, vcc, v7, v3, vcc
	v_lshlrev_b64 v[2:3], 4, v[5:6]
	s_lshl_b32 s4, s2, 5
	v_add_co_u32_e32 v2, vcc, v9, v2
	v_addc_co_u32_e32 v3, vcc, v10, v3, vcc
	v_add_u32_e32 v5, s4, v5
	s_waitcnt lgkmcnt(1)
	global_store_dwordx4 v[2:3], v[11:14], off
	v_lshlrev_b64 v[2:3], 4, v[5:6]
	v_add_u32_e32 v5, s4, v5
	v_add_co_u32_e32 v2, vcc, v9, v2
	v_addc_co_u32_e32 v3, vcc, v10, v3, vcc
	ds_read_b128 v[11:14], v4 offset:1024
	s_waitcnt lgkmcnt(1)
	global_store_dwordx4 v[2:3], v[15:18], off
	ds_read_b128 v[15:18], v4 offset:1536
	v_lshlrev_b64 v[2:3], 4, v[5:6]
	v_add_u32_e32 v5, s4, v5
	v_add_co_u32_e32 v2, vcc, v9, v2
	v_addc_co_u32_e32 v3, vcc, v10, v3, vcc
	s_waitcnt lgkmcnt(1)
	global_store_dwordx4 v[2:3], v[11:14], off
	v_lshlrev_b64 v[2:3], 4, v[5:6]
	v_add_u32_e32 v5, s4, v5
	v_add_co_u32_e32 v2, vcc, v9, v2
	v_addc_co_u32_e32 v3, vcc, v10, v3, vcc
	ds_read_b128 v[11:14], v4 offset:2048
	s_waitcnt lgkmcnt(1)
	global_store_dwordx4 v[2:3], v[15:18], off
	ds_read_b128 v[15:18], v4 offset:2560
	v_lshlrev_b64 v[2:3], 4, v[5:6]
	v_add_u32_e32 v5, s4, v5
	v_add_co_u32_e32 v2, vcc, v9, v2
	v_addc_co_u32_e32 v3, vcc, v10, v3, vcc
	s_waitcnt lgkmcnt(1)
	global_store_dwordx4 v[2:3], v[11:14], off
	v_lshlrev_b64 v[2:3], 4, v[5:6]
	v_add_u32_e32 v5, s4, v5
	v_add_co_u32_e32 v2, vcc, v9, v2
	v_addc_co_u32_e32 v3, vcc, v10, v3, vcc
	ds_read_b128 v[11:14], v4 offset:3072
	s_waitcnt lgkmcnt(1)
	global_store_dwordx4 v[2:3], v[15:18], off
	ds_read_b128 v[15:18], v4 offset:3584
	v_lshlrev_b64 v[2:3], 4, v[5:6]
	v_add_u32_e32 v5, s4, v5
	v_add_co_u32_e32 v2, vcc, v9, v2
	v_addc_co_u32_e32 v3, vcc, v10, v3, vcc
	s_waitcnt lgkmcnt(1)
	global_store_dwordx4 v[2:3], v[11:14], off
	v_lshlrev_b64 v[2:3], 4, v[5:6]
	s_and_b32 s0, s0, 7
	v_add_co_u32_e32 v2, vcc, v9, v2
	v_addc_co_u32_e32 v3, vcc, v10, v3, vcc
	v_cmp_gt_u32_e32 vcc, s0, v0
	s_mov_b64 s[2:3], s[6:7]
	s_waitcnt lgkmcnt(0)
	global_store_dwordx4 v[2:3], v[15:18], off
                                        ; implicit-def: $vgpr3_vgpr4
                                        ; implicit-def: $vgpr7_vgpr8
	s_and_saveexec_b64 s[0:1], vcc
	s_cbranch_execz .LBB0_15
; %bb.14:
	v_add_u32_e32 v5, s4, v5
	ds_read_b128 v[1:4], v1 offset:4096
	v_lshlrev_b64 v[5:6], 4, v[5:6]
	s_or_b64 s[2:3], s[6:7], exec
	v_add_co_u32_e32 v7, vcc, v9, v5
	v_addc_co_u32_e32 v8, vcc, v10, v6, vcc
	s_waitcnt lgkmcnt(0)
	global_store_dwordx2 v[7:8], v[1:2], off
.LBB0_15:
	s_or_b64 exec, exec, s[0:1]
	s_andn2_b64 s[0:1], s[6:7], exec
	s_and_b64 s[2:3], s[2:3], exec
	s_or_b64 s[6:7], s[0:1], s[2:3]
.LBB0_16:
	s_or_b64 exec, exec, s[10:11]
.LBB0_17:
	s_and_saveexec_b64 s[0:1], s[6:7]
	s_cbranch_execnz .LBB0_19
; %bb.18:
	s_endpgm
.LBB0_19:
	global_store_dwordx2 v[7:8], v[3:4], off offset:8
	s_endpgm
	.section	.rodata,"a",@progbits
	.p2align	6, 0x0
	.amdhsa_kernel fft_rtc_fwd_len256_factors_4_4_4_4_wgs_256_tpt_32_dp_op_CI_CI_sbrc_erc_z_xy_unaligned
		.amdhsa_group_segment_fixed_size 0
		.amdhsa_private_segment_fixed_size 0
		.amdhsa_kernarg_size 104
		.amdhsa_user_sgpr_count 6
		.amdhsa_user_sgpr_private_segment_buffer 1
		.amdhsa_user_sgpr_dispatch_ptr 0
		.amdhsa_user_sgpr_queue_ptr 0
		.amdhsa_user_sgpr_kernarg_segment_ptr 1
		.amdhsa_user_sgpr_dispatch_id 0
		.amdhsa_user_sgpr_flat_scratch_init 0
		.amdhsa_user_sgpr_private_segment_size 0
		.amdhsa_uses_dynamic_stack 0
		.amdhsa_system_sgpr_private_segment_wavefront_offset 0
		.amdhsa_system_sgpr_workgroup_id_x 1
		.amdhsa_system_sgpr_workgroup_id_y 0
		.amdhsa_system_sgpr_workgroup_id_z 0
		.amdhsa_system_sgpr_workgroup_info 0
		.amdhsa_system_vgpr_workitem_id 0
		.amdhsa_next_free_vgpr 53
		.amdhsa_next_free_sgpr 42
		.amdhsa_reserve_vcc 1
		.amdhsa_reserve_flat_scratch 0
		.amdhsa_float_round_mode_32 0
		.amdhsa_float_round_mode_16_64 0
		.amdhsa_float_denorm_mode_32 3
		.amdhsa_float_denorm_mode_16_64 3
		.amdhsa_dx10_clamp 1
		.amdhsa_ieee_mode 1
		.amdhsa_fp16_overflow 0
		.amdhsa_exception_fp_ieee_invalid_op 0
		.amdhsa_exception_fp_denorm_src 0
		.amdhsa_exception_fp_ieee_div_zero 0
		.amdhsa_exception_fp_ieee_overflow 0
		.amdhsa_exception_fp_ieee_underflow 0
		.amdhsa_exception_fp_ieee_inexact 0
		.amdhsa_exception_int_div_zero 0
	.end_amdhsa_kernel
	.text
.Lfunc_end0:
	.size	fft_rtc_fwd_len256_factors_4_4_4_4_wgs_256_tpt_32_dp_op_CI_CI_sbrc_erc_z_xy_unaligned, .Lfunc_end0-fft_rtc_fwd_len256_factors_4_4_4_4_wgs_256_tpt_32_dp_op_CI_CI_sbrc_erc_z_xy_unaligned
                                        ; -- End function
	.section	.AMDGPU.csdata,"",@progbits
; Kernel info:
; codeLenInByte = 4604
; NumSgprs: 46
; NumVgprs: 53
; ScratchSize: 0
; MemoryBound: 0
; FloatMode: 240
; IeeeMode: 1
; LDSByteSize: 0 bytes/workgroup (compile time only)
; SGPRBlocks: 5
; VGPRBlocks: 13
; NumSGPRsForWavesPerEU: 46
; NumVGPRsForWavesPerEU: 53
; Occupancy: 4
; WaveLimiterHint : 1
; COMPUTE_PGM_RSRC2:SCRATCH_EN: 0
; COMPUTE_PGM_RSRC2:USER_SGPR: 6
; COMPUTE_PGM_RSRC2:TRAP_HANDLER: 0
; COMPUTE_PGM_RSRC2:TGID_X_EN: 1
; COMPUTE_PGM_RSRC2:TGID_Y_EN: 0
; COMPUTE_PGM_RSRC2:TGID_Z_EN: 0
; COMPUTE_PGM_RSRC2:TIDIG_COMP_CNT: 0
	.type	__hip_cuid_21b9b585d8b51be5,@object ; @__hip_cuid_21b9b585d8b51be5
	.section	.bss,"aw",@nobits
	.globl	__hip_cuid_21b9b585d8b51be5
__hip_cuid_21b9b585d8b51be5:
	.byte	0                               ; 0x0
	.size	__hip_cuid_21b9b585d8b51be5, 1

	.ident	"AMD clang version 19.0.0git (https://github.com/RadeonOpenCompute/llvm-project roc-6.4.0 25133 c7fe45cf4b819c5991fe208aaa96edf142730f1d)"
	.section	".note.GNU-stack","",@progbits
	.addrsig
	.addrsig_sym __hip_cuid_21b9b585d8b51be5
	.amdgpu_metadata
---
amdhsa.kernels:
  - .args:
      - .actual_access:  read_only
        .address_space:  global
        .offset:         0
        .size:           8
        .value_kind:     global_buffer
      - .offset:         8
        .size:           8
        .value_kind:     by_value
      - .actual_access:  read_only
        .address_space:  global
        .offset:         16
        .size:           8
        .value_kind:     global_buffer
      - .actual_access:  read_only
        .address_space:  global
        .offset:         24
        .size:           8
        .value_kind:     global_buffer
      - .actual_access:  read_only
        .address_space:  global
        .offset:         32
        .size:           8
        .value_kind:     global_buffer
      - .offset:         40
        .size:           8
        .value_kind:     by_value
      - .actual_access:  read_only
        .address_space:  global
        .offset:         48
        .size:           8
        .value_kind:     global_buffer
      - .actual_access:  read_only
        .address_space:  global
        .offset:         56
        .size:           8
        .value_kind:     global_buffer
      - .offset:         64
        .size:           4
        .value_kind:     by_value
      - .actual_access:  read_only
        .address_space:  global
        .offset:         72
        .size:           8
        .value_kind:     global_buffer
      - .actual_access:  read_only
        .address_space:  global
        .offset:         80
        .size:           8
        .value_kind:     global_buffer
      - .actual_access:  read_only
        .address_space:  global
        .offset:         88
        .size:           8
        .value_kind:     global_buffer
      - .actual_access:  write_only
        .address_space:  global
        .offset:         96
        .size:           8
        .value_kind:     global_buffer
    .group_segment_fixed_size: 0
    .kernarg_segment_align: 8
    .kernarg_segment_size: 104
    .language:       OpenCL C
    .language_version:
      - 2
      - 0
    .max_flat_workgroup_size: 256
    .name:           fft_rtc_fwd_len256_factors_4_4_4_4_wgs_256_tpt_32_dp_op_CI_CI_sbrc_erc_z_xy_unaligned
    .private_segment_fixed_size: 0
    .sgpr_count:     46
    .sgpr_spill_count: 0
    .symbol:         fft_rtc_fwd_len256_factors_4_4_4_4_wgs_256_tpt_32_dp_op_CI_CI_sbrc_erc_z_xy_unaligned.kd
    .uniform_work_group_size: 1
    .uses_dynamic_stack: false
    .vgpr_count:     53
    .vgpr_spill_count: 0
    .wavefront_size: 64
amdhsa.target:   amdgcn-amd-amdhsa--gfx906
amdhsa.version:
  - 1
  - 2
...

	.end_amdgpu_metadata
